;; amdgpu-corpus repo=ROCm/rocFFT kind=compiled arch=gfx950 opt=O3
	.text
	.amdgcn_target "amdgcn-amd-amdhsa--gfx950"
	.amdhsa_code_object_version 6
	.protected	fft_rtc_fwd_len100_factors_5_5_4_wgs_100_tpt_25_sp_op_CI_CI_sbrc_erc_z_xy_unaligned ; -- Begin function fft_rtc_fwd_len100_factors_5_5_4_wgs_100_tpt_25_sp_op_CI_CI_sbrc_erc_z_xy_unaligned
	.globl	fft_rtc_fwd_len100_factors_5_5_4_wgs_100_tpt_25_sp_op_CI_CI_sbrc_erc_z_xy_unaligned
	.p2align	8
	.type	fft_rtc_fwd_len100_factors_5_5_4_wgs_100_tpt_25_sp_op_CI_CI_sbrc_erc_z_xy_unaligned,@function
fft_rtc_fwd_len100_factors_5_5_4_wgs_100_tpt_25_sp_op_CI_CI_sbrc_erc_z_xy_unaligned: ; @fft_rtc_fwd_len100_factors_5_5_4_wgs_100_tpt_25_sp_op_CI_CI_sbrc_erc_z_xy_unaligned
; %bb.0:
	s_load_dwordx8 s[4:11], s[0:1], 0x8
	s_mov_b64 s[28:29], -1
	s_waitcnt lgkmcnt(0)
	s_load_dwordx4 s[12:15], s[6:7], 0x8
	s_load_dwordx4 s[16:19], s[8:9], 0x0
	s_waitcnt lgkmcnt(0)
	s_load_dword s13, s[8:9], 0x10
	s_add_i32 s3, s12, -1
	s_lshr_b32 s3, s3, 2
	s_add_i32 s6, s3, 1
	s_mul_i32 s7, s6, s14
	v_cvt_f32_u32_e32 v2, s7
	v_cvt_f32_u32_e32 v1, s6
	s_sub_i32 s14, 0, s7
	v_rcp_iflag_f32_e32 v2, v2
	v_rcp_iflag_f32_e32 v1, v1
	v_mul_f32_e32 v2, 0x4f7ffffe, v2
	v_cvt_u32_f32_e32 v2, v2
	v_mul_f32_e32 v1, 0x4f7ffffe, v1
	v_cvt_u32_f32_e32 v1, v1
	v_readfirstlane_b32 s20, v2
	s_mul_i32 s14, s14, s20
	s_mul_hi_u32 s14, s20, s14
	s_add_i32 s20, s20, s14
	s_mul_hi_u32 s14, s2, s20
	s_mul_i32 s20, s14, s7
	s_sub_i32 s20, s2, s20
	s_add_i32 s21, s14, 1
	s_sub_i32 s22, s20, s7
	s_cmp_ge_u32 s20, s7
	s_cselect_b32 s14, s21, s14
	s_cselect_b32 s20, s22, s20
	s_add_i32 s21, s14, 1
	s_cmp_ge_u32 s20, s7
	v_readfirstlane_b32 s15, v1
	s_cselect_b32 s30, s21, s14
	s_not_b32 s3, s3
	s_mul_i32 s3, s3, s15
	s_mul_i32 s7, s30, s7
	s_mul_hi_u32 s3, s15, s3
	s_sub_i32 s7, s2, s7
	s_add_i32 s15, s15, s3
	s_mul_hi_u32 s3, s7, s15
	s_mul_i32 s14, s3, s6
	s_sub_i32 s7, s7, s14
	s_add_i32 s20, s3, 1
	s_sub_i32 s14, s7, s6
	s_cmp_ge_u32 s7, s6
	s_cselect_b32 s3, s20, s3
	s_cselect_b32 s7, s14, s7
	s_add_i32 s14, s3, 1
	s_cmp_ge_u32 s7, s6
	s_cselect_b32 s31, s14, s3
	s_mul_hi_u32 s3, s2, s15
	s_mul_i32 s3, s3, s6
	s_sub_i32 s3, s2, s3
	s_sub_i32 s7, s3, s6
	s_cmp_ge_u32 s3, s6
	s_cselect_b32 s3, s7, s3
	s_sub_i32 s7, s3, s6
	s_cmp_ge_u32 s3, s6
	s_cselect_b32 s3, s7, s3
	s_waitcnt lgkmcnt(0)
	s_mul_i32 s6, s31, s13
	s_lshl_b32 s13, s3, 2
	s_mul_i32 s7, s13, s18
	s_add_i32 s14, s7, s6
	s_lshl_b64 s[4:5], s[4:5], 3
	s_add_u32 s6, s8, s4
	s_addc_u32 s7, s9, s5
	s_load_dwordx2 s[8:9], s[6:7], 0x0
	s_load_dwordx2 s[22:23], s[0:1], 0x58
	v_mul_u32_u24_e32 v1, 0x290, v0
	v_lshrrev_b32_e32 v2, 16, v1
	v_mul_lo_u16_e32 v1, 0x64, v2
	s_waitcnt lgkmcnt(0)
	s_mul_i32 s6, s9, s30
	s_mul_hi_u32 s7, s8, s30
	s_add_i32 s7, s7, s6
	s_mul_i32 s6, s8, s30
	s_add_u32 s24, s6, s14
	s_addc_u32 s25, s7, 0
	s_add_u32 s26, s10, s4
	s_addc_u32 s27, s11, s5
	s_add_i32 s4, s13, 4
	s_cmp_le_u32 s4, s12
	s_cselect_b64 s[14:15], -1, 0
	v_sub_u16_e32 v1, v0, v1
	s_and_b64 vcc, exec, s[14:15]
	s_cbranch_vccz .LBB0_2
; %bb.1:
	v_mad_u64_u32 v[4:5], s[4:5], s16, v1, 0
	v_mov_b32_e32 v6, v5
	v_mad_u64_u32 v[6:7], s[4:5], s17, v1, v[6:7]
	s_lshl_b64 s[4:5], s[24:25], 3
	s_add_u32 s4, s22, s4
	v_mov_b32_e32 v5, v6
	s_addc_u32 s5, s23, s5
	v_mul_lo_u32 v6, s18, v2
	v_mov_b32_e32 v7, 0
	v_lshl_add_u64 v[4:5], v[4:5], 3, s[4:5]
	v_lshl_add_u64 v[8:9], v[6:7], 3, v[4:5]
	v_add_u32_e32 v6, s18, v6
	v_lshl_add_u64 v[10:11], v[6:7], 3, v[4:5]
	v_add_u32_e32 v6, s18, v6
	;; [unrolled: 2-line block ×3, first 2 shown]
	v_lshl_add_u64 v[4:5], v[6:7], 3, v[4:5]
	global_load_dwordx2 v[6:7], v[8:9], off
	global_load_dwordx2 v[14:15], v[10:11], off
	;; [unrolled: 1-line block ×4, first 2 shown]
	v_mul_u32_u24_e32 v3, 0x328, v2
	v_lshlrev_b32_e32 v4, 3, v1
	v_add3_u32 v3, 0, v3, v4
	v_add_u32_e32 v4, 0x400, v3
	s_mov_b64 s[28:29], 0
	s_waitcnt vmcnt(2)
	ds_write2_b64 v3, v[6:7], v[14:15] offset1:101
	s_waitcnt vmcnt(0)
	ds_write2_b64 v4, v[16:17], v[18:19] offset0:74 offset1:175
.LBB0_2:
	s_load_dwordx2 s[8:9], s[10:11], 0x10
	s_load_dwordx4 s[4:7], s[10:11], 0x0
	s_load_dwordx2 s[20:21], s[26:27], 0x0
	s_andn2_b64 vcc, exec, s[28:29]
	s_cbranch_vccnz .LBB0_16
; %bb.3:
	v_add_u32_e32 v3, s13, v2
	v_cmp_gt_u32_e32 vcc, s12, v3
	s_and_saveexec_b64 s[10:11], vcc
	s_cbranch_execz .LBB0_15
; %bb.4:
	v_mad_u64_u32 v[4:5], s[26:27], s16, v1, 0
	v_mov_b32_e32 v6, v5
	v_mad_u64_u32 v[6:7], s[16:17], s17, v1, v[6:7]
	s_lshl_b64 s[16:17], s[24:25], 3
	s_add_u32 s16, s22, s16
	s_addc_u32 s17, s23, s17
	s_sub_i32 s3, s2, s3
	s_waitcnt lgkmcnt(0)
	s_lshl_b32 s7, s3, 2
	s_lshl_b32 s9, s2, 2
	s_add_i32 s7, s7, s12
	v_or_b32_e32 v3, s9, v2
	v_mov_b32_e32 v5, v6
	v_sub_u32_e32 v10, s7, v3
	v_lshl_add_u64 v[4:5], v[4:5], 3, s[16:17]
	v_cmp_lt_u32_e32 vcc, 39, v10
	s_mov_b64 s[2:3], 0
	v_lshlrev_b32_e32 v3, 3, v1
                                        ; implicit-def: $vgpr7
	s_and_saveexec_b64 s[16:17], vcc
	s_xor_b64 s[16:17], exec, s[16:17]
	s_cbranch_execnz .LBB0_7
; %bb.5:
	s_andn2_saveexec_b64 s[16:17], s[16:17]
	s_cbranch_execnz .LBB0_12
.LBB0_6:
	s_or_b64 exec, exec, s[16:17]
	s_and_b64 exec, exec, s[2:3]
	s_cbranch_execnz .LBB0_13
	s_branch .LBB0_15
.LBB0_7:
	v_not_b32_e32 v7, v2
	v_add_u32_e32 v3, s7, v7
	v_subrev_u32_e32 v11, s9, v3
	s_movk_i32 s7, 0x328
	v_mul_u32_u24_e32 v6, 0x328, v2
	v_lshlrev_b32_e32 v3, 3, v1
	v_add3_u32 v6, 0, v6, v3
	v_mul_hi_u32 v8, v11, s7
	v_cmp_ne_u32_e32 vcc, 0, v8
	v_mad_u64_u32 v[8:9], s[2:3], v11, s7, v[6:7]
	v_cmp_lt_u32_e64 s[2:3], v8, v6
	v_add_u32_e32 v6, 4, v6
	v_add_u32_e32 v8, 4, v8
	s_or_b64 s[22:23], s[2:3], vcc
	v_cmp_lt_u32_e64 s[2:3], v8, v6
	s_or_b64 s[2:3], s[2:3], vcc
	s_cmp_eq_u64 s[18:19], 1
	s_cselect_b64 s[24:25], -1, 0
	s_or_b64 s[2:3], s[22:23], s[2:3]
	s_xor_b64 s[2:3], s[2:3], -1
	v_cmp_le_u32_e32 vcc, v11, v7
	s_and_b64 s[2:3], s[2:3], s[24:25]
	s_mov_b32 s9, 0
	s_mov_b64 s[22:23], -1
	s_and_b64 s[24:25], s[2:3], vcc
	v_mov_b32_e32 v7, 0
	s_and_saveexec_b64 s[2:3], s[24:25]
	s_cbranch_execz .LBB0_11
; %bb.8:
	v_and_b32_e32 v7, -2, v10
	v_lshl_add_u32 v6, v1, 3, 0
	v_mov_b32_e32 v1, v2
	s_mov_b32 s19, s18
	s_mov_b32 s24, 1
	s_mov_b64 s[22:23], 0
	v_mov_b32_e32 v9, 0
	v_mov_b32_e32 v11, v7
.LBB0_9:                                ; =>This Inner Loop Header: Depth=1
	v_add_u32_e32 v20, s9, v2
	v_add_u32_e32 v21, s24, v1
	v_mul_lo_u32 v8, v20, s18
	v_mov_b32_e32 v13, v9
	v_mul_lo_u32 v12, v21, s19
	v_lshl_add_u64 v[14:15], v[8:9], 3, v[4:5]
	v_lshl_add_u64 v[12:13], v[12:13], 3, v[4:5]
	global_load_dwordx2 v[16:17], v[14:15], off
	global_load_dwordx2 v[18:19], v[12:13], off
	v_add_u32_e32 v11, -2, v11
	s_add_i32 s9, s9, 2
	s_add_i32 s24, s24, 2
	v_cmp_eq_u32_e32 vcc, 0, v11
	v_mad_u64_u32 v[12:13], s[26:27], v20, s7, v[6:7]
	s_or_b64 s[22:23], vcc, s[22:23]
	v_mad_u64_u32 v[14:15], s[26:27], v21, s7, v[6:7]
	s_waitcnt vmcnt(1)
	ds_write_b32 v12, v16
	s_waitcnt vmcnt(0)
	ds_write_b32 v14, v18
	ds_write_b32 v12, v17 offset:4
	ds_write_b32 v14, v19 offset:4
	s_andn2_b64 exec, exec, s[22:23]
	s_cbranch_execnz .LBB0_9
; %bb.10:
	s_or_b64 exec, exec, s[22:23]
	v_cmp_ne_u32_e32 vcc, v10, v7
	s_orn2_b64 s[22:23], vcc, exec
.LBB0_11:
	s_or_b64 exec, exec, s[2:3]
	s_and_b64 s[2:3], s[22:23], exec
	s_andn2_saveexec_b64 s[16:17], s[16:17]
	s_cbranch_execz .LBB0_6
.LBB0_12:
	v_mov_b32_e32 v7, 0
	s_or_b64 s[2:3], s[2:3], exec
	s_or_b64 exec, exec, s[16:17]
	s_and_b64 exec, exec, s[2:3]
	s_cbranch_execz .LBB0_15
.LBB0_13:
	v_add_u32_e32 v6, v7, v2
	s_movk_i32 s2, 0x328
	v_mul_lo_u32 v1, v6, s2
	v_add3_u32 v1, v1, v3, 0
	v_mul_lo_u32 v2, v6, s18
	v_add_u32_e32 v6, s13, v6
	s_mov_b64 s[2:3], 0
	v_mov_b32_e32 v3, 0
.LBB0_14:                               ; =>This Inner Loop Header: Depth=1
	v_lshl_add_u64 v[8:9], v[2:3], 3, v[4:5]
	global_load_dwordx2 v[8:9], v[8:9], off
	v_add_u32_e32 v6, 1, v6
	v_cmp_le_u32_e32 vcc, s12, v6
	v_add_u32_e32 v2, s18, v2
	s_or_b64 s[2:3], vcc, s[2:3]
	s_waitcnt vmcnt(0)
	ds_write_b64 v1, v[8:9]
	v_add_u32_e32 v1, 0x328, v1
	s_andn2_b64 exec, exec, s[2:3]
	s_cbranch_execnz .LBB0_14
.LBB0_15:
	s_or_b64 exec, exec, s[10:11]
.LBB0_16:
	s_movk_i32 s2, 0xa3e
	v_mul_u32_u24_sdwa v1, v0, s2 dst_sel:DWORD dst_unused:UNUSED_PAD src0_sel:WORD_0 src1_sel:DWORD
	v_mov_b32_e32 v2, 3
	s_mov_b32 s2, 0xa3d70a4
	v_and_b32_sdwa v1, v1, v2 dst_sel:DWORD dst_unused:UNUSED_PAD src0_sel:WORD_1 src1_sel:DWORD
	v_mul_hi_u32 v2, v0, s2
	v_mul_u32_u24_e32 v2, 25, v2
	v_mul_lo_u16_e32 v1, 0x65, v1
	v_sub_u32_e32 v13, v0, v2
	v_lshlrev_b32_e32 v14, 3, v1
	v_lshlrev_b32_e32 v1, 3, v13
	v_add3_u32 v12, 0, v14, v1
	v_add_u32_e32 v15, 0, v1
	s_waitcnt lgkmcnt(0)
	s_barrier
	v_add_u32_e32 v1, v15, v14
	ds_read_b64 v[20:21], v12
	ds_read2_b64 v[8:11], v1 offset0:20 offset1:40
	ds_read2_b64 v[16:19], v1 offset0:60 offset1:80
	s_mov_b32 s2, 0x3f737871
	s_mov_b32 s10, 0x3f167918
	;; [unrolled: 1-line block ×3, first 2 shown]
	s_waitcnt lgkmcnt(1)
	v_pk_add_f32 v[2:3], v[20:21], v[8:9]
	s_waitcnt lgkmcnt(0)
	v_pk_add_f32 v[22:23], v[8:9], v[18:19] neg_lo:[0,1] neg_hi:[0,1]
	v_pk_add_f32 v[2:3], v[2:3], v[10:11]
	v_pk_mul_f32 v[4:5], v[22:23], s[2:3] op_sel_hi:[1,0]
	v_pk_add_f32 v[2:3], v[2:3], v[16:17]
	v_pk_add_f32 v[26:27], v[10:11], v[16:17] neg_lo:[0,1] neg_hi:[0,1]
	v_pk_add_f32 v[6:7], v[2:3], v[18:19]
	v_pk_add_f32 v[2:3], v[10:11], v[16:17]
	v_pk_add_f32 v[30:31], v[18:19], v[16:17] neg_lo:[0,1] neg_hi:[0,1]
	v_pk_fma_f32 v[2:3], v[2:3], 0.5, v[20:21] op_sel_hi:[1,0,1] neg_lo:[1,0,0] neg_hi:[1,0,0]
	v_pk_mul_f32 v[22:23], v[22:23], s[10:11] op_sel_hi:[1,0]
	v_pk_add_f32 v[24:25], v[2:3], v[4:5] op_sel:[0,1] op_sel_hi:[1,0]
	v_pk_add_f32 v[2:3], v[2:3], v[4:5] op_sel:[0,1] op_sel_hi:[1,0] neg_lo:[0,1] neg_hi:[0,1]
	v_pk_mul_f32 v[4:5], v[26:27], s[10:11] op_sel_hi:[1,0]
	v_cmp_gt_u32_e32 vcc, 20, v13
	v_pk_add_f32 v[28:29], v[2:3], v[4:5] op_sel:[0,1] op_sel_hi:[1,0] neg_lo:[0,1] neg_hi:[0,1]
	v_pk_add_f32 v[4:5], v[24:25], v[4:5] op_sel:[0,1] op_sel_hi:[1,0]
	v_pk_add_f32 v[24:25], v[8:9], v[10:11] neg_lo:[0,1] neg_hi:[0,1]
	v_mov_b32_e32 v2, v4
	v_mov_b32_e32 v3, v29
	v_pk_add_f32 v[24:25], v[24:25], v[30:31]
	v_mov_b32_e32 v29, v5
	v_pk_fma_f32 v[2:3], v[24:25], s[16:17], v[2:3] op_sel_hi:[1,0,1]
	v_pk_fma_f32 v[4:5], v[24:25], s[16:17], v[28:29] op_sel_hi:[1,0,1]
	v_pk_add_f32 v[24:25], v[8:9], v[18:19]
	v_pk_add_f32 v[8:9], v[10:11], v[8:9] neg_lo:[0,1] neg_hi:[0,1]
	v_pk_fma_f32 v[20:21], v[24:25], 0.5, v[20:21] op_sel_hi:[1,0,1] neg_lo:[1,0,0] neg_hi:[1,0,0]
	v_pk_mul_f32 v[24:25], v[26:27], s[2:3] op_sel_hi:[1,0]
	v_pk_add_f32 v[10:11], v[16:17], v[18:19] neg_lo:[0,1] neg_hi:[0,1]
	v_pk_add_f32 v[26:27], v[20:21], v[24:25] op_sel:[0,1] op_sel_hi:[1,0] neg_lo:[0,1] neg_hi:[0,1]
	v_pk_add_f32 v[20:21], v[20:21], v[24:25] op_sel:[0,1] op_sel_hi:[1,0]
	v_pk_add_f32 v[8:9], v[8:9], v[10:11]
	v_pk_add_f32 v[20:21], v[20:21], v[22:23] op_sel:[0,1] op_sel_hi:[1,0] neg_lo:[0,1] neg_hi:[0,1]
	v_pk_add_f32 v[22:23], v[26:27], v[22:23] op_sel:[0,1] op_sel_hi:[1,0]
	v_mov_b32_e32 v25, v21
	v_mov_b32_e32 v24, v22
	;; [unrolled: 1-line block ×3, first 2 shown]
	v_pk_fma_f32 v[10:11], v[8:9], s[16:17], v[24:25] op_sel_hi:[1,0,1]
	v_pk_fma_f32 v[8:9], v[8:9], s[16:17], v[20:21] op_sel_hi:[1,0,1]
	s_barrier
	s_and_saveexec_b64 s[2:3], vcc
	s_cbranch_execz .LBB0_18
; %bb.17:
	v_lshlrev_b32_e32 v16, 5, v13
	v_add3_u32 v15, v15, v16, v14
	ds_write2_b64 v15, v[6:7], v[2:3] offset1:1
	ds_write2_b64 v15, v[10:11], v[8:9] offset0:2 offset1:3
	ds_write_b64 v15, v[4:5] offset:32
.LBB0_18:
	s_or_b64 exec, exec, s[2:3]
	s_load_dwordx2 s[2:3], s[0:1], 0x0
	s_waitcnt lgkmcnt(0)
	s_barrier
	s_and_saveexec_b64 s[10:11], vcc
	s_cbranch_execz .LBB0_20
; %bb.19:
	ds_read2_b64 v[2:5], v1 offset0:60 offset1:80
	ds_read2_b64 v[16:19], v1 offset0:20 offset1:40
	ds_read2_b32 v[6:7], v12 offset1:1
	s_waitcnt lgkmcnt(2)
	v_mov_b32_e32 v9, v3
	v_mov_b32_e32 v8, v2
	s_waitcnt lgkmcnt(1)
	v_mov_b32_e32 v11, v19
	v_mov_b32_e32 v10, v18
	;; [unrolled: 1-line block ×4, first 2 shown]
.LBB0_20:
	s_or_b64 exec, exec, s[10:11]
	s_load_dwordx2 s[0:1], s[0:1], 0x60
	s_waitcnt lgkmcnt(0)
	s_barrier
	s_and_saveexec_b64 s[10:11], vcc
	s_cbranch_execz .LBB0_22
; %bb.21:
	s_movk_i32 s7, 0xcd
	v_mul_lo_u16_sdwa v15, v13, s7 dst_sel:DWORD dst_unused:UNUSED_PAD src0_sel:BYTE_0 src1_sel:DWORD
	v_lshrrev_b16_e32 v15, 10, v15
	v_mul_lo_u16_e32 v16, 5, v15
	v_sub_u16_e32 v16, v13, v16
	v_and_b32_e32 v25, 0xff, v16
	v_lshlrev_b32_e32 v24, 5, v25
	global_load_dwordx4 v[16:19], v24, s[2:3]
	global_load_dwordx4 v[20:23], v24, s[2:3] offset:16
	v_mov_b32_e32 v26, v3
	v_mov_b32_e32 v30, v5
	;; [unrolled: 1-line block ×3, first 2 shown]
	v_mul_lo_u16_e32 v5, 25, v15
	v_mov_b32_e32 v24, v11
	v_mov_b32_e32 v28, v9
	v_lshlrev_b32_sdwa v3, v3, v5 dst_sel:DWORD dst_unused:UNUSED_PAD src0_sel:DWORD src1_sel:BYTE_0
	v_lshl_add_u32 v5, v25, 3, 0
	v_add3_u32 v32, v5, v3, v14
	s_mov_b32 s18, 0x3f737871
	s_mov_b32 s22, 0x3f167918
	s_waitcnt vmcnt(1)
	v_pk_mul_f32 v[14:15], v[24:25], v[18:19] op_sel_hi:[0,1]
	v_pk_mul_f32 v[24:25], v[26:27], v[16:17] op_sel_hi:[0,1]
	s_waitcnt vmcnt(0)
	v_pk_mul_f32 v[26:27], v[28:29], v[20:21] op_sel_hi:[0,1]
	v_pk_mul_f32 v[28:29], v[30:31], v[22:23] op_sel_hi:[0,1]
	v_pk_fma_f32 v[30:31], v[10:11], v[18:19], v[14:15] op_sel:[0,0,1] op_sel_hi:[1,1,0] neg_lo:[0,0,1] neg_hi:[0,0,1]
	v_pk_fma_f32 v[10:11], v[10:11], v[18:19], v[14:15] op_sel:[0,0,1] op_sel_hi:[0,1,0]
	v_pk_fma_f32 v[14:15], v[2:3], v[16:17], v[24:25] op_sel:[0,0,1] op_sel_hi:[1,1,0] neg_lo:[0,0,1] neg_hi:[0,0,1]
	v_pk_fma_f32 v[2:3], v[2:3], v[16:17], v[24:25] op_sel:[0,0,1] op_sel_hi:[0,1,0]
	;; [unrolled: 2-line block ×4, first 2 shown]
	v_mov_b32_e32 v31, v11
	v_mov_b32_e32 v15, v3
	;; [unrolled: 1-line block ×4, first 2 shown]
	v_pk_add_f32 v[2:3], v[6:7], v[14:15]
	v_pk_add_f32 v[8:9], v[14:15], v[18:19] neg_lo:[0,1] neg_hi:[0,1]
	v_pk_add_f32 v[10:11], v[14:15], v[30:31] neg_lo:[0,1] neg_hi:[0,1]
	;; [unrolled: 1-line block ×3, first 2 shown]
	v_pk_add_f32 v[22:23], v[30:31], v[16:17]
	v_pk_add_f32 v[4:5], v[30:31], v[16:17] neg_lo:[0,1] neg_hi:[0,1]
	v_pk_add_f32 v[24:25], v[30:31], v[14:15] neg_lo:[0,1] neg_hi:[0,1]
	v_pk_add_f32 v[14:15], v[14:15], v[18:19]
	v_pk_add_f32 v[2:3], v[2:3], v[30:31]
	;; [unrolled: 1-line block ×3, first 2 shown]
	v_pk_fma_f32 v[20:21], v[22:23], 0.5, v[6:7] op_sel_hi:[1,0,1] neg_lo:[1,0,0] neg_hi:[1,0,0]
	v_pk_mul_f32 v[22:23], v[8:9], s[18:19] op_sel_hi:[1,0]
	v_pk_add_f32 v[26:27], v[16:17], v[18:19] neg_lo:[0,1] neg_hi:[0,1]
	v_pk_mul_f32 v[28:29], v[4:5], s[22:23] op_sel_hi:[1,0]
	v_pk_fma_f32 v[6:7], v[14:15], 0.5, v[6:7] op_sel_hi:[1,0,1] neg_lo:[1,0,0] neg_hi:[1,0,0]
	v_pk_mul_f32 v[4:5], v[4:5], s[18:19] op_sel_hi:[1,0]
	v_pk_add_f32 v[2:3], v[2:3], v[16:17]
	v_pk_add_f32 v[14:15], v[20:21], v[22:23] op_sel:[0,1] op_sel_hi:[1,0]
	v_pk_add_f32 v[16:17], v[20:21], v[22:23] op_sel:[0,1] op_sel_hi:[1,0] neg_lo:[0,1] neg_hi:[0,1]
	v_pk_mul_f32 v[8:9], v[8:9], s[22:23] op_sel_hi:[1,0]
	v_pk_add_f32 v[20:21], v[6:7], v[4:5] op_sel:[0,1] op_sel_hi:[1,0] neg_lo:[0,1] neg_hi:[0,1]
	v_pk_add_f32 v[4:5], v[6:7], v[4:5] op_sel:[0,1] op_sel_hi:[1,0]
	v_pk_add_f32 v[6:7], v[16:17], v[28:29] op_sel:[0,1] op_sel_hi:[1,0] neg_lo:[0,1] neg_hi:[0,1]
	v_pk_add_f32 v[14:15], v[14:15], v[28:29] op_sel:[0,1] op_sel_hi:[1,0]
	;; [unrolled: 2-line block ×3, first 2 shown]
	v_mov_b32_e32 v16, v14
	v_mov_b32_e32 v17, v7
	v_pk_add_f32 v[24:25], v[24:25], v[26:27]
	v_pk_add_f32 v[2:3], v[2:3], v[18:19]
	v_mov_b32_e32 v18, v8
	v_mov_b32_e32 v19, v5
	;; [unrolled: 1-line block ×4, first 2 shown]
	v_pk_fma_f32 v[8:9], v[10:11], s[16:17], v[16:17] op_sel_hi:[1,0,1]
	v_pk_fma_f32 v[14:15], v[24:25], s[16:17], v[18:19] op_sel_hi:[1,0,1]
	;; [unrolled: 1-line block ×4, first 2 shown]
	ds_write2_b64 v32, v[2:3], v[8:9] offset1:5
	ds_write2_b64 v32, v[14:15], v[4:5] offset0:10 offset1:15
	ds_write_b64 v32, v[6:7] offset:160
.LBB0_22:
	s_or_b64 exec, exec, s[10:11]
	v_mul_u32_u24_e32 v2, 3, v13
	v_lshlrev_b32_e32 v8, 3, v2
	s_waitcnt lgkmcnt(0)
	s_barrier
	global_load_dwordx4 v[2:5], v8, s[2:3] offset:160
	global_load_dwordx2 v[6:7], v8, s[2:3] offset:176
	ds_read2_b64 v[14:17], v1 offset0:25 offset1:50
	ds_read_b64 v[10:11], v12
	ds_read_b64 v[12:13], v1 offset:600
	s_mul_i32 s2, s5, s13
	s_mul_hi_u32 s3, s4, s13
	s_mul_i32 s31, s31, s6
	s_mul_i32 s6, s4, s13
	s_add_i32 s3, s3, s2
	s_mul_i32 s7, s21, s30
	s_mul_hi_u32 s9, s20, s30
	s_add_u32 s2, s6, s31
	s_mul_i32 s10, s20, s30
	s_addc_u32 s3, s3, 0
	s_add_i32 s9, s9, s7
	s_add_u32 s6, s2, s10
	v_lshrrev_b32_e32 v8, 2, v0
	s_waitcnt lgkmcnt(0)
	s_barrier
	s_addc_u32 s7, s3, s9
	s_andn2_b64 vcc, exec, s[14:15]
	s_waitcnt vmcnt(1)
	v_pk_mul_f32 v[18:19], v[2:3], v[14:15] op_sel:[0,1]
	v_pk_mul_f32 v[20:21], v[4:5], v[16:17] op_sel:[0,1]
	s_waitcnt vmcnt(0)
	v_pk_mul_f32 v[22:23], v[6:7], v[12:13] op_sel:[0,1]
	v_pk_fma_f32 v[24:25], v[2:3], v[14:15], v[18:19] op_sel:[0,0,1] op_sel_hi:[1,1,0] neg_lo:[0,0,1] neg_hi:[0,0,1]
	v_pk_fma_f32 v[2:3], v[2:3], v[14:15], v[18:19] op_sel:[0,0,1] op_sel_hi:[1,0,0]
	v_pk_fma_f32 v[14:15], v[4:5], v[16:17], v[20:21] op_sel:[0,0,1] op_sel_hi:[1,1,0] neg_lo:[0,0,1] neg_hi:[0,0,1]
	v_pk_fma_f32 v[4:5], v[4:5], v[16:17], v[20:21] op_sel:[0,0,1] op_sel_hi:[1,0,0]
	;; [unrolled: 2-line block ×3, first 2 shown]
	v_mov_b32_e32 v25, v3
	v_mov_b32_e32 v15, v5
	;; [unrolled: 1-line block ×3, first 2 shown]
	v_pk_add_f32 v[2:3], v[10:11], v[14:15] neg_lo:[0,1] neg_hi:[0,1]
	v_pk_add_f32 v[4:5], v[24:25], v[16:17] neg_lo:[0,1] neg_hi:[0,1]
	v_pk_fma_f32 v[6:7], v[10:11], 2.0, v[2:3] op_sel_hi:[1,0,1] neg_lo:[0,0,1] neg_hi:[0,0,1]
	v_pk_fma_f32 v[10:11], v[24:25], 2.0, v[4:5] op_sel_hi:[1,0,1] neg_lo:[0,0,1] neg_hi:[0,0,1]
	v_pk_add_f32 v[12:13], v[2:3], v[4:5] op_sel:[0,1] op_sel_hi:[1,0] neg_lo:[0,1] neg_hi:[0,1]
	v_pk_add_f32 v[4:5], v[2:3], v[4:5] op_sel:[0,1] op_sel_hi:[1,0]
	v_pk_add_f32 v[10:11], v[6:7], v[10:11] neg_lo:[0,1] neg_hi:[0,1]
	v_mov_b32_e32 v13, v5
	v_pk_fma_f32 v[4:5], v[6:7], 2.0, v[10:11] op_sel_hi:[1,0,1] neg_lo:[0,0,1] neg_hi:[0,0,1]
	v_pk_fma_f32 v[2:3], v[2:3], 2.0, v[12:13] op_sel_hi:[1,0,1] neg_lo:[0,0,1] neg_hi:[0,0,1]
	ds_write2_b64 v1, v[10:11], v[12:13] offset0:50 offset1:75
	ds_write2_b64 v1, v[4:5], v[2:3] offset1:25
	v_and_b32_e32 v1, 3, v0
	s_waitcnt lgkmcnt(0)
	s_barrier
	s_cbranch_vccnz .LBB0_26
; %bb.23:
	v_mad_u64_u32 v[4:5], s[2:3], s4, v1, 0
	v_mov_b32_e32 v2, v5
	v_mad_u64_u32 v[2:3], s[2:3], s5, v1, v[2:3]
	s_movk_i32 s2, 0x328
	v_mov_b32_e32 v5, v2
	v_mad_u32_u24 v2, v1, s2, 0
	v_lshl_add_u32 v3, v8, 3, v2
	s_lshl_b64 s[2:3], s[6:7], 3
	ds_read2_b64 v[10:13], v3 offset1:25
	s_add_u32 s2, s0, s2
	s_addc_u32 s3, s1, s3
	ds_read2_b64 v[14:17], v3 offset0:50 offset1:75
	v_mul_lo_u32 v18, v8, s8
	v_mov_b32_e32 v19, 0
	v_lshl_add_u64 v[6:7], v[4:5], 3, s[2:3]
	s_mul_i32 s2, s8, 25
	v_lshl_add_u64 v[4:5], v[18:19], 3, v[6:7]
	v_add_u32_e32 v18, s2, v18
	s_waitcnt lgkmcnt(1)
	global_store_dwordx2 v[4:5], v[10:11], off
	v_lshl_add_u64 v[4:5], v[18:19], 3, v[6:7]
	v_add_u32_e32 v18, s2, v18
	global_store_dwordx2 v[4:5], v[12:13], off
	v_lshl_add_u64 v[4:5], v[18:19], 3, v[6:7]
	v_add_u32_e32 v18, s2, v18
	s_mov_b32 s11, 0
	s_waitcnt lgkmcnt(0)
	global_store_dwordx2 v[4:5], v[14:15], off
	v_lshl_add_u64 v[4:5], v[18:19], 3, v[6:7]
	v_cmp_gt_u32_e32 vcc, 4, v0
	s_mov_b64 s[14:15], 0
	s_mov_b64 s[2:3], 0
	global_store_dwordx2 v[4:5], v[16:17], off
                                        ; implicit-def: $vgpr3
                                        ; implicit-def: $vgpr4_vgpr5
	s_and_saveexec_b64 s[16:17], vcc
	s_cbranch_execz .LBB0_25
; %bb.24:
	ds_read_b64 v[2:3], v2 offset:800
	s_mul_i32 s10, s8, 0x64
	s_mov_b64 s[2:3], exec
	v_lshl_add_u64 v[4:5], s[10:11], 3, v[6:7]
	s_waitcnt lgkmcnt(0)
	global_store_dword v[4:5], v2, off
.LBB0_25:
	s_or_b64 exec, exec, s[16:17]
	s_and_b64 vcc, exec, s[14:15]
	s_cbranch_vccnz .LBB0_27
	s_branch .LBB0_32
.LBB0_26:
	s_mov_b64 s[2:3], 0
                                        ; implicit-def: $vgpr3
                                        ; implicit-def: $vgpr4_vgpr5
	s_cbranch_execz .LBB0_32
.LBB0_27:
	v_or_b32_e32 v2, s13, v1
	v_cmp_gt_u32_e32 vcc, s12, v2
                                        ; implicit-def: $vgpr3
                                        ; implicit-def: $vgpr4_vgpr5
	s_and_saveexec_b64 s[10:11], vcc
	s_cbranch_execz .LBB0_31
; %bb.28:
	v_mad_u64_u32 v[10:11], s[14:15], s4, v1, 0
	v_mov_b32_e32 v2, v11
	v_mad_u64_u32 v[2:3], s[4:5], s5, v1, v[2:3]
	s_movk_i32 s4, 0x328
	s_nop 0
	v_mad_u32_u24 v1, v1, s4, 0
	v_lshl_add_u32 v12, v8, 3, v1
	v_mov_b32_e32 v11, v2
	s_lshl_b64 s[4:5], s[6:7], 3
	ds_read2_b64 v[2:5], v12 offset1:25
	s_add_u32 s0, s0, s4
	s_addc_u32 s1, s1, s5
	v_mul_lo_u32 v6, v8, s8
	v_mov_b32_e32 v7, 0
	v_lshl_add_u64 v[8:9], v[10:11], 3, s[0:1]
	v_lshl_add_u64 v[10:11], v[6:7], 3, v[8:9]
	s_waitcnt lgkmcnt(0)
	global_store_dwordx2 v[10:11], v[2:3], off
	ds_read2_b64 v[10:13], v12 offset0:50 offset1:75
	s_mul_i32 s6, s8, 25
	v_add_u32_e32 v6, s6, v6
	v_lshl_add_u64 v[2:3], v[6:7], 3, v[8:9]
	v_add_u32_e32 v6, s6, v6
	global_store_dwordx2 v[2:3], v[4:5], off
	v_lshl_add_u64 v[2:3], v[6:7], 3, v[8:9]
	v_add_u32_e32 v6, s6, v6
	s_and_b32 s0, s12, 3
	s_waitcnt lgkmcnt(0)
	global_store_dwordx2 v[2:3], v[10:11], off
	v_lshl_add_u64 v[2:3], v[6:7], 3, v[8:9]
	v_cmp_gt_u32_e32 vcc, s0, v0
	s_mov_b64 s[4:5], s[2:3]
	global_store_dwordx2 v[2:3], v[12:13], off
                                        ; implicit-def: $vgpr3
                                        ; implicit-def: $vgpr4_vgpr5
	s_and_saveexec_b64 s[0:1], vcc
	s_cbranch_execz .LBB0_30
; %bb.29:
	ds_read_b64 v[2:3], v1 offset:800
	v_add_u32_e32 v6, s6, v6
	v_lshl_add_u64 v[4:5], v[6:7], 3, v[8:9]
	s_or_b64 s[4:5], s[2:3], exec
	s_waitcnt lgkmcnt(0)
	global_store_dword v[4:5], v2, off
.LBB0_30:
	s_or_b64 exec, exec, s[0:1]
	s_andn2_b64 s[0:1], s[2:3], exec
	s_and_b64 s[2:3], s[4:5], exec
	s_or_b64 s[2:3], s[0:1], s[2:3]
.LBB0_31:
	s_or_b64 exec, exec, s[10:11]
.LBB0_32:
	s_and_saveexec_b64 s[0:1], s[2:3]
	s_cbranch_execnz .LBB0_34
; %bb.33:
	s_endpgm
.LBB0_34:
	global_store_dword v[4:5], v3, off offset:4
	s_endpgm
	.section	.rodata,"a",@progbits
	.p2align	6, 0x0
	.amdhsa_kernel fft_rtc_fwd_len100_factors_5_5_4_wgs_100_tpt_25_sp_op_CI_CI_sbrc_erc_z_xy_unaligned
		.amdhsa_group_segment_fixed_size 0
		.amdhsa_private_segment_fixed_size 0
		.amdhsa_kernarg_size 104
		.amdhsa_user_sgpr_count 2
		.amdhsa_user_sgpr_dispatch_ptr 0
		.amdhsa_user_sgpr_queue_ptr 0
		.amdhsa_user_sgpr_kernarg_segment_ptr 1
		.amdhsa_user_sgpr_dispatch_id 0
		.amdhsa_user_sgpr_kernarg_preload_length 0
		.amdhsa_user_sgpr_kernarg_preload_offset 0
		.amdhsa_user_sgpr_private_segment_size 0
		.amdhsa_uses_dynamic_stack 0
		.amdhsa_enable_private_segment 0
		.amdhsa_system_sgpr_workgroup_id_x 1
		.amdhsa_system_sgpr_workgroup_id_y 0
		.amdhsa_system_sgpr_workgroup_id_z 0
		.amdhsa_system_sgpr_workgroup_info 0
		.amdhsa_system_vgpr_workitem_id 0
		.amdhsa_next_free_vgpr 33
		.amdhsa_next_free_sgpr 32
		.amdhsa_accum_offset 36
		.amdhsa_reserve_vcc 1
		.amdhsa_float_round_mode_32 0
		.amdhsa_float_round_mode_16_64 0
		.amdhsa_float_denorm_mode_32 3
		.amdhsa_float_denorm_mode_16_64 3
		.amdhsa_dx10_clamp 1
		.amdhsa_ieee_mode 1
		.amdhsa_fp16_overflow 0
		.amdhsa_tg_split 0
		.amdhsa_exception_fp_ieee_invalid_op 0
		.amdhsa_exception_fp_denorm_src 0
		.amdhsa_exception_fp_ieee_div_zero 0
		.amdhsa_exception_fp_ieee_overflow 0
		.amdhsa_exception_fp_ieee_underflow 0
		.amdhsa_exception_fp_ieee_inexact 0
		.amdhsa_exception_int_div_zero 0
	.end_amdhsa_kernel
	.text
.Lfunc_end0:
	.size	fft_rtc_fwd_len100_factors_5_5_4_wgs_100_tpt_25_sp_op_CI_CI_sbrc_erc_z_xy_unaligned, .Lfunc_end0-fft_rtc_fwd_len100_factors_5_5_4_wgs_100_tpt_25_sp_op_CI_CI_sbrc_erc_z_xy_unaligned
                                        ; -- End function
	.section	.AMDGPU.csdata,"",@progbits
; Kernel info:
; codeLenInByte = 3252
; NumSgprs: 38
; NumVgprs: 33
; NumAgprs: 0
; TotalNumVgprs: 33
; ScratchSize: 0
; MemoryBound: 0
; FloatMode: 240
; IeeeMode: 1
; LDSByteSize: 0 bytes/workgroup (compile time only)
; SGPRBlocks: 4
; VGPRBlocks: 4
; NumSGPRsForWavesPerEU: 38
; NumVGPRsForWavesPerEU: 33
; AccumOffset: 36
; Occupancy: 8
; WaveLimiterHint : 1
; COMPUTE_PGM_RSRC2:SCRATCH_EN: 0
; COMPUTE_PGM_RSRC2:USER_SGPR: 2
; COMPUTE_PGM_RSRC2:TRAP_HANDLER: 0
; COMPUTE_PGM_RSRC2:TGID_X_EN: 1
; COMPUTE_PGM_RSRC2:TGID_Y_EN: 0
; COMPUTE_PGM_RSRC2:TGID_Z_EN: 0
; COMPUTE_PGM_RSRC2:TIDIG_COMP_CNT: 0
; COMPUTE_PGM_RSRC3_GFX90A:ACCUM_OFFSET: 8
; COMPUTE_PGM_RSRC3_GFX90A:TG_SPLIT: 0
	.text
	.p2alignl 6, 3212836864
	.fill 256, 4, 3212836864
	.type	__hip_cuid_f5658a26acdbdcb2,@object ; @__hip_cuid_f5658a26acdbdcb2
	.section	.bss,"aw",@nobits
	.globl	__hip_cuid_f5658a26acdbdcb2
__hip_cuid_f5658a26acdbdcb2:
	.byte	0                               ; 0x0
	.size	__hip_cuid_f5658a26acdbdcb2, 1

	.ident	"AMD clang version 19.0.0git (https://github.com/RadeonOpenCompute/llvm-project roc-6.4.0 25133 c7fe45cf4b819c5991fe208aaa96edf142730f1d)"
	.section	".note.GNU-stack","",@progbits
	.addrsig
	.addrsig_sym __hip_cuid_f5658a26acdbdcb2
	.amdgpu_metadata
---
amdhsa.kernels:
  - .agpr_count:     0
    .args:
      - .actual_access:  read_only
        .address_space:  global
        .offset:         0
        .size:           8
        .value_kind:     global_buffer
      - .offset:         8
        .size:           8
        .value_kind:     by_value
      - .actual_access:  read_only
        .address_space:  global
        .offset:         16
        .size:           8
        .value_kind:     global_buffer
      - .actual_access:  read_only
        .address_space:  global
        .offset:         24
        .size:           8
        .value_kind:     global_buffer
      - .actual_access:  read_only
        .address_space:  global
        .offset:         32
        .size:           8
        .value_kind:     global_buffer
      - .offset:         40
        .size:           8
        .value_kind:     by_value
      - .actual_access:  read_only
        .address_space:  global
        .offset:         48
        .size:           8
        .value_kind:     global_buffer
      - .actual_access:  read_only
        .address_space:  global
        .offset:         56
        .size:           8
        .value_kind:     global_buffer
      - .offset:         64
        .size:           4
        .value_kind:     by_value
      - .actual_access:  read_only
        .address_space:  global
        .offset:         72
        .size:           8
        .value_kind:     global_buffer
      - .actual_access:  read_only
        .address_space:  global
        .offset:         80
        .size:           8
        .value_kind:     global_buffer
      - .actual_access:  read_only
        .address_space:  global
        .offset:         88
        .size:           8
        .value_kind:     global_buffer
      - .actual_access:  write_only
        .address_space:  global
        .offset:         96
        .size:           8
        .value_kind:     global_buffer
    .group_segment_fixed_size: 0
    .kernarg_segment_align: 8
    .kernarg_segment_size: 104
    .language:       OpenCL C
    .language_version:
      - 2
      - 0
    .max_flat_workgroup_size: 100
    .name:           fft_rtc_fwd_len100_factors_5_5_4_wgs_100_tpt_25_sp_op_CI_CI_sbrc_erc_z_xy_unaligned
    .private_segment_fixed_size: 0
    .sgpr_count:     38
    .sgpr_spill_count: 0
    .symbol:         fft_rtc_fwd_len100_factors_5_5_4_wgs_100_tpt_25_sp_op_CI_CI_sbrc_erc_z_xy_unaligned.kd
    .uniform_work_group_size: 1
    .uses_dynamic_stack: false
    .vgpr_count:     33
    .vgpr_spill_count: 0
    .wavefront_size: 64
amdhsa.target:   amdgcn-amd-amdhsa--gfx950
amdhsa.version:
  - 1
  - 2
...

	.end_amdgpu_metadata
